;; amdgpu-corpus repo=ROCm/rocFFT kind=compiled arch=gfx1030 opt=O3
	.text
	.amdgcn_target "amdgcn-amd-amdhsa--gfx1030"
	.amdhsa_code_object_version 6
	.protected	fft_rtc_fwd_len243_factors_3_3_3_3_3_wgs_243_tpt_81_sp_ip_CI_sbcc_twdbase5_3step_dirReg_intrinsicRead ; -- Begin function fft_rtc_fwd_len243_factors_3_3_3_3_3_wgs_243_tpt_81_sp_ip_CI_sbcc_twdbase5_3step_dirReg_intrinsicRead
	.globl	fft_rtc_fwd_len243_factors_3_3_3_3_3_wgs_243_tpt_81_sp_ip_CI_sbcc_twdbase5_3step_dirReg_intrinsicRead
	.p2align	8
	.type	fft_rtc_fwd_len243_factors_3_3_3_3_3_wgs_243_tpt_81_sp_ip_CI_sbcc_twdbase5_3step_dirReg_intrinsicRead,@function
fft_rtc_fwd_len243_factors_3_3_3_3_3_wgs_243_tpt_81_sp_ip_CI_sbcc_twdbase5_3step_dirReg_intrinsicRead: ; @fft_rtc_fwd_len243_factors_3_3_3_3_3_wgs_243_tpt_81_sp_ip_CI_sbcc_twdbase5_3step_dirReg_intrinsicRead
; %bb.0:
	s_load_dwordx8 s[8:15], s[4:5], 0x8
	s_mov_b32 s0, exec_lo
	v_cmpx_gt_u32_e32 0x60, v0
	s_cbranch_execz .LBB0_2
; %bb.1:
	v_lshlrev_b32_e32 v3, 3, v0
	s_waitcnt lgkmcnt(0)
	global_load_dwordx2 v[1:2], v3, s[8:9]
	v_add_nc_u32_e32 v3, 0, v3
	s_waitcnt vmcnt(0)
	ds_write_b64 v3, v[1:2] offset:5832
.LBB0_2:
	s_or_b32 exec_lo, exec_lo, s0
	s_waitcnt lgkmcnt(0)
	s_load_dwordx2 s[16:17], s[12:13], 0x8
	s_waitcnt lgkmcnt(0)
	s_add_u32 s0, s16, -1
	s_addc_u32 s1, s17, -1
	s_add_u32 s2, 0, 0x55500000
	s_addc_u32 s3, 0, 0x155
	s_mul_hi_u32 s8, s2, -3
	s_add_i32 s3, s3, 0x55555400
	s_sub_i32 s8, s8, s2
	s_mul_i32 s18, s3, -3
	s_mul_i32 s7, s2, -3
	s_add_i32 s8, s8, s18
	s_mul_hi_u32 s9, s2, s7
	s_mul_i32 s20, s2, s8
	s_mul_hi_u32 s18, s2, s8
	s_mul_hi_u32 s19, s3, s7
	s_mul_i32 s7, s3, s7
	s_add_u32 s9, s9, s20
	s_addc_u32 s18, 0, s18
	s_mul_hi_u32 s21, s3, s8
	s_add_u32 s7, s9, s7
	s_mul_i32 s8, s3, s8
	s_addc_u32 s7, s18, s19
	s_addc_u32 s9, s21, 0
	s_add_u32 s7, s7, s8
	v_add_co_u32 v1, s2, s2, s7
	s_addc_u32 s7, 0, s9
	s_cmp_lg_u32 s2, 0
	s_addc_u32 s2, s3, s7
	v_readfirstlane_b32 s3, v1
	s_mul_i32 s8, s0, s2
	s_mul_hi_u32 s7, s0, s2
	s_mul_hi_u32 s9, s1, s2
	s_mul_i32 s2, s1, s2
	s_mul_hi_u32 s18, s0, s3
	s_mul_hi_u32 s19, s1, s3
	s_mul_i32 s3, s1, s3
	s_add_u32 s8, s18, s8
	s_addc_u32 s7, 0, s7
	s_add_u32 s3, s8, s3
	s_addc_u32 s3, s7, s19
	s_addc_u32 s7, s9, 0
	s_add_u32 s2, s3, s2
	s_addc_u32 s3, 0, s7
	s_mul_i32 s8, s2, 3
	s_add_u32 s7, s2, 1
	v_sub_co_u32 v1, s0, s0, s8
	s_mul_hi_u32 s8, s2, 3
	s_addc_u32 s9, s3, 0
	s_mul_i32 s18, s3, 3
	v_sub_co_u32 v2, s19, v1, 3
	s_add_u32 s20, s2, 2
	s_addc_u32 s21, s3, 0
	s_add_i32 s8, s8, s18
	s_cmp_lg_u32 s0, 0
	v_readfirstlane_b32 s0, v2
	s_subb_u32 s1, s1, s8
	s_cmp_lg_u32 s19, 0
	s_subb_u32 s8, s1, 0
	s_cmp_gt_u32 s0, 2
	s_cselect_b32 s0, -1, 0
	s_cmp_eq_u32 s8, 0
	v_readfirstlane_b32 s8, v1
	s_cselect_b32 s0, s0, -1
	s_cmp_lg_u32 s0, 0
	s_cselect_b32 s0, s20, s7
	s_cselect_b32 s9, s21, s9
	s_cmp_gt_u32 s8, 2
	s_mov_b64 s[20:21], 0
	s_cselect_b32 s7, -1, 0
	s_cmp_eq_u32 s1, 0
	s_cselect_b32 s1, s7, -1
	s_mov_b32 s7, 0
	s_cmp_lg_u32 s1, 0
	s_cselect_b32 s0, s0, s2
	s_cselect_b32 s1, s9, s3
	s_add_u32 s18, s0, 1
	s_addc_u32 s19, s1, 0
	v_cmp_lt_u64_e64 s0, s[6:7], s[18:19]
	s_and_b32 vcc_lo, exec_lo, s0
	s_cbranch_vccnz .LBB0_4
; %bb.3:
	v_cvt_f32_u32_e32 v1, s18
	s_sub_i32 s1, 0, s18
	s_mov_b32 s21, s7
	v_rcp_iflag_f32_e32 v1, v1
	v_mul_f32_e32 v1, 0x4f7ffffe, v1
	v_cvt_u32_f32_e32 v1, v1
	v_readfirstlane_b32 s0, v1
	s_mul_i32 s1, s1, s0
	s_mul_hi_u32 s1, s0, s1
	s_add_i32 s0, s0, s1
	s_mul_hi_u32 s0, s6, s0
	s_mul_i32 s1, s0, s18
	s_add_i32 s2, s0, 1
	s_sub_i32 s1, s6, s1
	s_sub_i32 s3, s1, s18
	s_cmp_ge_u32 s1, s18
	s_cselect_b32 s0, s2, s0
	s_cselect_b32 s1, s3, s1
	s_add_i32 s2, s0, 1
	s_cmp_ge_u32 s1, s18
	s_cselect_b32 s20, s2, s0
.LBB0_4:
	s_load_dwordx4 s[0:3], s[14:15], 0x0
	s_clause 0x1
	s_load_dwordx2 s[8:9], s[4:5], 0x58
	s_load_dwordx2 s[4:5], s[4:5], 0x0
	s_mul_i32 s22, s20, s19
	s_mul_hi_u32 s23, s20, s18
	s_mul_i32 s24, s20, s18
	s_add_i32 s23, s23, s22
	s_sub_u32 s34, s6, s24
	s_subb_u32 s22, 0, s23
	s_mul_hi_u32 s33, s34, 3
	s_mul_i32 s22, s22, 3
	v_cmp_lt_u64_e64 s25, s[10:11], 3
	s_mul_i32 s34, s34, 3
	s_add_i32 s33, s33, s22
	s_and_b32 vcc_lo, exec_lo, s25
	s_waitcnt lgkmcnt(0)
	s_mul_i32 s22, s2, s33
	s_mul_hi_u32 s23, s2, s34
	s_mul_i32 s24, s3, s34
	s_add_i32 s22, s23, s22
	s_mul_i32 s35, s2, s34
	s_add_i32 s36, s22, s24
	s_cbranch_vccnz .LBB0_14
; %bb.5:
	s_add_u32 s22, s14, 16
	s_addc_u32 s23, s15, 0
	s_add_u32 s12, s12, 16
	s_addc_u32 s13, s13, 0
	s_mov_b64 s[24:25], 2
	s_mov_b32 s26, 0
.LBB0_6:                                ; =>This Inner Loop Header: Depth=1
	s_load_dwordx2 s[28:29], s[12:13], 0x0
	s_waitcnt lgkmcnt(0)
	s_or_b64 s[30:31], s[20:21], s[28:29]
	s_mov_b32 s27, s31
                                        ; implicit-def: $sgpr30_sgpr31
	s_cmp_lg_u64 s[26:27], 0
	s_mov_b32 s27, -1
	s_cbranch_scc0 .LBB0_8
; %bb.7:                                ;   in Loop: Header=BB0_6 Depth=1
	v_cvt_f32_u32_e32 v1, s28
	v_cvt_f32_u32_e32 v2, s29
	s_sub_u32 s31, 0, s28
	s_subb_u32 s37, 0, s29
	v_fmac_f32_e32 v1, 0x4f800000, v2
	v_rcp_f32_e32 v1, v1
	v_mul_f32_e32 v1, 0x5f7ffffc, v1
	v_mul_f32_e32 v2, 0x2f800000, v1
	v_trunc_f32_e32 v2, v2
	v_fmac_f32_e32 v1, 0xcf800000, v2
	v_cvt_u32_f32_e32 v2, v2
	v_cvt_u32_f32_e32 v1, v1
	v_readfirstlane_b32 s27, v2
	v_readfirstlane_b32 s30, v1
	s_mul_i32 s38, s31, s27
	s_mul_hi_u32 s40, s31, s30
	s_mul_i32 s39, s37, s30
	s_add_i32 s38, s40, s38
	s_mul_i32 s41, s31, s30
	s_add_i32 s38, s38, s39
	s_mul_hi_u32 s40, s30, s41
	s_mul_hi_u32 s42, s27, s41
	s_mul_i32 s39, s27, s41
	s_mul_hi_u32 s41, s30, s38
	s_mul_i32 s30, s30, s38
	s_mul_hi_u32 s43, s27, s38
	s_add_u32 s30, s40, s30
	s_addc_u32 s40, 0, s41
	s_add_u32 s30, s30, s39
	s_mul_i32 s38, s27, s38
	s_addc_u32 s30, s40, s42
	s_addc_u32 s39, s43, 0
	s_add_u32 s30, s30, s38
	s_addc_u32 s38, 0, s39
	v_add_co_u32 v1, s30, v1, s30
	s_cmp_lg_u32 s30, 0
	s_addc_u32 s27, s27, s38
	v_readfirstlane_b32 s30, v1
	s_mul_i32 s38, s31, s27
	s_mul_hi_u32 s39, s31, s30
	s_mul_i32 s37, s37, s30
	s_add_i32 s38, s39, s38
	s_mul_i32 s31, s31, s30
	s_add_i32 s38, s38, s37
	s_mul_hi_u32 s39, s27, s31
	s_mul_i32 s40, s27, s31
	s_mul_hi_u32 s31, s30, s31
	s_mul_hi_u32 s41, s30, s38
	s_mul_i32 s30, s30, s38
	s_mul_hi_u32 s37, s27, s38
	s_add_u32 s30, s31, s30
	s_addc_u32 s31, 0, s41
	s_add_u32 s30, s30, s40
	s_mul_i32 s38, s27, s38
	s_addc_u32 s30, s31, s39
	s_addc_u32 s31, s37, 0
	s_add_u32 s30, s30, s38
	s_addc_u32 s31, 0, s31
	v_add_co_u32 v1, s30, v1, s30
	s_cmp_lg_u32 s30, 0
	s_addc_u32 s27, s27, s31
	v_readfirstlane_b32 s30, v1
	s_mul_i32 s37, s20, s27
	s_mul_hi_u32 s31, s20, s27
	s_mul_hi_u32 s38, s21, s27
	s_mul_i32 s27, s21, s27
	s_mul_hi_u32 s39, s20, s30
	s_mul_hi_u32 s40, s21, s30
	s_mul_i32 s30, s21, s30
	s_add_u32 s37, s39, s37
	s_addc_u32 s31, 0, s31
	s_add_u32 s30, s37, s30
	s_addc_u32 s30, s31, s40
	s_addc_u32 s31, s38, 0
	s_add_u32 s30, s30, s27
	s_addc_u32 s31, 0, s31
	s_mul_hi_u32 s27, s28, s30
	s_mul_i32 s38, s28, s31
	s_mul_i32 s39, s28, s30
	s_add_i32 s27, s27, s38
	v_sub_co_u32 v1, s38, s20, s39
	s_mul_i32 s37, s29, s30
	s_add_i32 s27, s27, s37
	v_sub_co_u32 v2, s39, v1, s28
	s_sub_i32 s37, s21, s27
	s_cmp_lg_u32 s38, 0
	s_subb_u32 s37, s37, s29
	s_cmp_lg_u32 s39, 0
	v_readfirstlane_b32 s39, v2
	s_subb_u32 s37, s37, 0
	s_cmp_ge_u32 s37, s29
	s_cselect_b32 s40, -1, 0
	s_cmp_ge_u32 s39, s28
	s_cselect_b32 s39, -1, 0
	s_cmp_eq_u32 s37, s29
	s_cselect_b32 s37, s39, s40
	s_add_u32 s39, s30, 1
	s_addc_u32 s40, s31, 0
	s_add_u32 s41, s30, 2
	s_addc_u32 s42, s31, 0
	s_cmp_lg_u32 s37, 0
	s_cselect_b32 s37, s41, s39
	s_cselect_b32 s39, s42, s40
	s_cmp_lg_u32 s38, 0
	v_readfirstlane_b32 s38, v1
	s_subb_u32 s27, s21, s27
	s_cmp_ge_u32 s27, s29
	s_cselect_b32 s40, -1, 0
	s_cmp_ge_u32 s38, s28
	s_cselect_b32 s38, -1, 0
	s_cmp_eq_u32 s27, s29
	s_cselect_b32 s27, s38, s40
	s_cmp_lg_u32 s27, 0
	s_mov_b32 s27, 0
	s_cselect_b32 s31, s39, s31
	s_cselect_b32 s30, s37, s30
.LBB0_8:                                ;   in Loop: Header=BB0_6 Depth=1
	s_andn2_b32 vcc_lo, exec_lo, s27
	s_cbranch_vccnz .LBB0_10
; %bb.9:                                ;   in Loop: Header=BB0_6 Depth=1
	v_cvt_f32_u32_e32 v1, s28
	s_sub_i32 s30, 0, s28
	v_rcp_iflag_f32_e32 v1, v1
	v_mul_f32_e32 v1, 0x4f7ffffe, v1
	v_cvt_u32_f32_e32 v1, v1
	v_readfirstlane_b32 s27, v1
	s_mul_i32 s30, s30, s27
	s_mul_hi_u32 s30, s27, s30
	s_add_i32 s27, s27, s30
	s_mul_hi_u32 s27, s20, s27
	s_mul_i32 s30, s27, s28
	s_add_i32 s31, s27, 1
	s_sub_i32 s30, s20, s30
	s_sub_i32 s37, s30, s28
	s_cmp_ge_u32 s30, s28
	s_cselect_b32 s27, s31, s27
	s_cselect_b32 s30, s37, s30
	s_add_i32 s31, s27, 1
	s_cmp_ge_u32 s30, s28
	s_cselect_b32 s30, s31, s27
	s_mov_b32 s31, s26
.LBB0_10:                               ;   in Loop: Header=BB0_6 Depth=1
	s_load_dwordx2 s[38:39], s[22:23], 0x0
	s_mul_i32 s19, s28, s19
	s_mul_hi_u32 s27, s28, s18
	s_mul_i32 s37, s29, s18
	s_mul_i32 s29, s30, s29
	s_mul_hi_u32 s40, s30, s28
	s_mul_i32 s41, s31, s28
	s_add_i32 s19, s27, s19
	s_add_i32 s27, s40, s29
	s_mul_i32 s42, s30, s28
	s_add_i32 s19, s19, s37
	s_add_i32 s27, s27, s41
	s_sub_u32 s20, s20, s42
	s_subb_u32 s21, s21, s27
	s_mul_i32 s18, s28, s18
	s_waitcnt lgkmcnt(0)
	s_mul_i32 s21, s38, s21
	s_mul_hi_u32 s27, s38, s20
	s_add_i32 s21, s27, s21
	s_mul_i32 s27, s39, s20
	s_mul_i32 s20, s38, s20
	s_add_i32 s21, s21, s27
	s_add_u32 s35, s20, s35
	s_addc_u32 s36, s21, s36
	s_add_u32 s24, s24, 1
	s_addc_u32 s25, s25, 0
	s_add_u32 s22, s22, 8
	v_cmp_ge_u64_e64 s20, s[24:25], s[10:11]
	s_addc_u32 s23, s23, 0
	s_add_u32 s12, s12, 8
	s_addc_u32 s13, s13, 0
	s_and_b32 vcc_lo, exec_lo, s20
	s_cbranch_vccnz .LBB0_12
; %bb.11:                               ;   in Loop: Header=BB0_6 Depth=1
	s_mov_b64 s[20:21], s[30:31]
	s_branch .LBB0_6
.LBB0_12:
	v_cmp_lt_u64_e64 s7, s[6:7], s[18:19]
	s_mov_b64 s[20:21], 0
	s_and_b32 vcc_lo, exec_lo, s7
	s_cbranch_vccnz .LBB0_14
; %bb.13:
	v_cvt_f32_u32_e32 v1, s18
	s_sub_i32 s12, 0, s18
	v_rcp_iflag_f32_e32 v1, v1
	v_mul_f32_e32 v1, 0x4f7ffffe, v1
	v_cvt_u32_f32_e32 v1, v1
	v_readfirstlane_b32 s7, v1
	s_mul_i32 s12, s12, s7
	s_mul_hi_u32 s12, s7, s12
	s_add_i32 s7, s7, s12
	s_mul_hi_u32 s7, s6, s7
	s_mul_i32 s12, s7, s18
	s_sub_i32 s6, s6, s12
	s_add_i32 s12, s7, 1
	s_sub_i32 s13, s6, s18
	s_cmp_ge_u32 s6, s18
	s_cselect_b32 s7, s12, s7
	s_cselect_b32 s6, s13, s6
	s_add_i32 s12, s7, 1
	s_cmp_ge_u32 s6, s18
	s_cselect_b32 s20, s12, s7
.LBB0_14:
	s_lshl_b64 s[6:7], s[10:11], 3
	v_mul_hi_u32 v5, 0x55555556, v0
	s_add_u32 s6, s14, s6
	s_addc_u32 s7, s15, s7
	v_mul_hi_u32 v20, 0x1c71c71d, v0
	s_load_dwordx2 s[6:7], s[6:7], 0x0
	v_mul_u32_u24_e32 v1, 3, v5
	v_add_nc_u32_e32 v3, 0xa2, v5
	v_add_nc_u32_e32 v2, 0x51, v5
	v_mul_lo_u32 v7, s0, v5
	v_mul_u32_u24_e32 v13, 0x48, v5
	v_sub_nc_u32_e32 v6, v0, v1
	v_mul_lo_u32 v9, s0, v3
	v_mul_lo_u32 v8, s0, v2
	v_mul_hi_u32 v19, 0x1c71c71d, v5
	v_mad_u64_u32 v[3:4], null, s2, v6, 0
	v_add_co_u32 v1, s10, s34, v6
	v_add_co_ci_u32_e64 v2, null, s33, 0, s10
	s_waitcnt lgkmcnt(0)
	s_mul_i32 s2, s7, s20
	s_mul_hi_u32 s7, s6, s20
	s_mul_i32 s6, s6, s20
	s_add_i32 s7, s7, s2
	s_add_u32 s6, s6, s35
	s_addc_u32 s7, s7, s36
	s_add_u32 s10, s34, 3
	s_addc_u32 s11, s33, 0
	v_cmp_gt_u64_e32 vcc_lo, s[16:17], v[1:2]
	v_cmp_le_u64_e64 s2, s[10:11], s[16:17]
	v_add_lshl_u32 v2, v3, v7, 3
	v_add_lshl_u32 v7, v3, v8, 3
	;; [unrolled: 1-line block ×3, first 2 shown]
	s_mov_b32 s11, 0x31014000
	s_mov_b32 s10, -2
	s_or_b32 vcc_lo, s2, vcc_lo
	s_lshl_b32 s2, s6, 3
	v_cndmask_b32_e32 v7, -1, v7, vcc_lo
	v_cndmask_b32_e32 v9, -1, v8, vcc_lo
	;; [unrolled: 1-line block ×3, first 2 shown]
	v_lshlrev_b32_e32 v17, 3, v6
	s_clause 0x2
	buffer_load_dwordx2 v[7:8], v7, s[8:11], s2 offen
	buffer_load_dwordx2 v[9:10], v9, s[8:11], s2 offen
	;; [unrolled: 1-line block ×3, first 2 shown]
	v_mul_hi_u32 v2, 0x55555556, v5
	v_mul_u32_u24_e32 v19, 9, v19
	v_sub_nc_u32_e32 v19, v5, v19
	v_mul_u32_u24_e32 v2, 3, v2
	v_sub_nc_u32_e32 v18, v5, v2
	v_add3_u32 v2, 0, v13, v17
	s_waitcnt vmcnt(1)
	v_add_f32_e32 v13, v7, v9
	v_add_f32_e32 v15, v8, v10
	s_waitcnt vmcnt(0)
	v_add_f32_e32 v14, v11, v7
	v_sub_f32_e32 v16, v8, v10
	v_add_f32_e32 v8, v12, v8
	v_fma_f32 v11, -0.5, v13, v11
	v_sub_f32_e32 v13, v7, v9
	v_fmac_f32_e32 v12, -0.5, v15
	v_add_f32_e32 v7, v14, v9
	v_add_f32_e32 v8, v8, v10
	v_fmamk_f32 v9, v16, 0x3f5db3d7, v11
	v_fmac_f32_e32 v11, 0xbf5db3d7, v16
	v_fmamk_f32 v10, v13, 0xbf5db3d7, v12
	v_fmac_f32_e32 v12, 0x3f5db3d7, v13
	v_lshlrev_b32_e32 v13, 4, v18
	ds_write2_b64 v2, v[7:8], v[9:10] offset1:3
	ds_write_b64 v2, v[11:12] offset:48
	s_waitcnt lgkmcnt(0)
	s_barrier
	buffer_gl0_inv
	global_load_dwordx4 v[7:10], v13, s[4:5]
	v_mad_i32_i24 v2, 0xffffffd0, v5, v2
	ds_read2_b64 v[11:14], v2 offset1:243
	ds_read_b64 v[15:16], v2 offset:3888
	v_mad_u32_u24 v18, v20, 9, v18
	s_waitcnt vmcnt(0) lgkmcnt(0)
	s_barrier
	buffer_gl0_inv
	v_mul_u32_u24_e32 v18, 24, v18
	v_mul_f32_e32 v20, v8, v14
	v_mul_f32_e32 v21, v10, v16
	;; [unrolled: 1-line block ×4, first 2 shown]
	v_fma_f32 v20, v7, v13, -v20
	v_fma_f32 v15, v9, v15, -v21
	v_fmac_f32_e32 v14, v8, v13
	v_fmac_f32_e32 v10, v9, v16
	v_add3_u32 v16, 0, v18, v17
	v_add_f32_e32 v9, v20, v11
	v_add_f32_e32 v7, v20, v15
	v_sub_f32_e32 v20, v20, v15
	v_add_f32_e32 v8, v14, v10
	v_sub_f32_e32 v18, v14, v10
	v_add_f32_e32 v14, v14, v12
	v_fma_f32 v7, -0.5, v7, v11
	v_lshlrev_b32_e32 v13, 4, v19
	v_fma_f32 v8, -0.5, v8, v12
	v_add_f32_e32 v9, v9, v15
	v_add_f32_e32 v10, v14, v10
	v_fmamk_f32 v11, v18, 0x3f5db3d7, v7
	v_fmac_f32_e32 v7, 0xbf5db3d7, v18
	v_fmamk_f32 v12, v20, 0xbf5db3d7, v8
	v_fmac_f32_e32 v8, 0x3f5db3d7, v20
	ds_write2_b64 v16, v[9:10], v[11:12] offset1:9
	ds_write_b64 v16, v[7:8] offset:144
	s_waitcnt lgkmcnt(0)
	s_barrier
	buffer_gl0_inv
	global_load_dwordx4 v[7:10], v13, s[4:5] offset:48
	ds_read2_b64 v[11:14], v2 offset1:243
	ds_read_b64 v[15:16], v2 offset:3888
	v_mul_hi_u32 v20, 0x97b425f, v0
	v_mul_hi_u32 v18, 0x97b425f, v5
	s_waitcnt vmcnt(0) lgkmcnt(0)
	s_barrier
	buffer_gl0_inv
	v_mad_u32_u24 v19, v20, 27, v19
	v_mul_u32_u24_e32 v18, 27, v18
	v_mul_u32_u24_e32 v19, 24, v19
	v_sub_nc_u32_e32 v18, v5, v18
	v_mul_f32_e32 v20, v8, v14
	v_mul_f32_e32 v21, v10, v16
	;; [unrolled: 1-line block ×4, first 2 shown]
	v_fma_f32 v20, v7, v13, -v20
	v_fma_f32 v15, v9, v15, -v21
	v_fmac_f32_e32 v14, v8, v13
	v_fmac_f32_e32 v10, v9, v16
	v_add3_u32 v16, 0, v19, v17
	v_add_f32_e32 v9, v20, v11
	v_add_f32_e32 v7, v20, v15
	v_sub_f32_e32 v20, v20, v15
	v_add_f32_e32 v8, v14, v10
	v_sub_f32_e32 v19, v14, v10
	v_add_f32_e32 v14, v14, v12
	v_fma_f32 v7, -0.5, v7, v11
	v_lshlrev_b32_e32 v13, 4, v18
	v_fma_f32 v8, -0.5, v8, v12
	v_add_f32_e32 v9, v9, v15
	v_add_f32_e32 v10, v14, v10
	v_fmamk_f32 v11, v19, 0x3f5db3d7, v7
	v_fmac_f32_e32 v7, 0xbf5db3d7, v19
	v_fmamk_f32 v12, v20, 0xbf5db3d7, v8
	v_fmac_f32_e32 v8, 0x3f5db3d7, v20
	ds_write2_b64 v16, v[9:10], v[11:12] offset1:27
	ds_write_b64 v16, v[7:8] offset:432
	s_waitcnt lgkmcnt(0)
	s_barrier
	buffer_gl0_inv
	global_load_dwordx4 v[7:10], v13, s[4:5] offset:192
	ds_read2_b64 v[11:14], v2 offset1:243
	ds_read_b64 v[15:16], v2 offset:3888
	v_mul_hi_u32 v19, 0x3291620, v0
	s_waitcnt vmcnt(0) lgkmcnt(0)
	s_barrier
	buffer_gl0_inv
	v_mad_u32_u24 v18, 0x51, v19, v18
	v_mul_u32_u24_e32 v18, 24, v18
	v_mul_f32_e32 v19, v8, v14
	v_mul_f32_e32 v20, v10, v16
	;; [unrolled: 1-line block ×4, first 2 shown]
	v_fma_f32 v19, v7, v13, -v19
	v_fma_f32 v15, v9, v15, -v20
	v_fmac_f32_e32 v14, v8, v13
	v_fmac_f32_e32 v10, v9, v16
	v_add3_u32 v13, 0, v18, v17
	v_add_f32_e32 v9, v19, v11
	v_add_f32_e32 v7, v19, v15
	v_sub_f32_e32 v17, v19, v15
	v_add_f32_e32 v8, v14, v10
	v_sub_f32_e32 v16, v14, v10
	v_add_f32_e32 v14, v14, v12
	v_fma_f32 v7, -0.5, v7, v11
	v_add_f32_e32 v9, v9, v15
	v_fma_f32 v8, -0.5, v8, v12
	v_add_f32_e32 v10, v14, v10
	v_fmamk_f32 v11, v16, 0x3f5db3d7, v7
	v_fmac_f32_e32 v7, 0xbf5db3d7, v16
	v_fmamk_f32 v12, v17, 0xbf5db3d7, v8
	v_fmac_f32_e32 v8, 0x3f5db3d7, v17
	ds_write2_b64 v13, v[9:10], v[11:12] offset1:81
	ds_write_b64 v13, v[7:8] offset:1296
	s_waitcnt lgkmcnt(0)
	s_barrier
	buffer_gl0_inv
	s_and_saveexec_b32 s2, vcc_lo
	s_cbranch_execz .LBB0_16
; %bb.15:
	v_mul_hi_u32 v7, 0x3291620, v5
	v_mul_hi_u32 v0, 0x10db20b, v0
	ds_read2_b64 v[11:14], v2 offset1:243
	v_mul_u32_u24_e32 v7, 0x51, v7
	v_sub_nc_u32_e32 v15, v5, v7
	v_lshlrev_b32_e32 v5, 4, v15
	v_add_nc_u32_e32 v16, 0xa2, v15
	v_mad_u32_u24 v19, 0xf3, v0, v15
	v_mul_lo_u32 v17, v15, v1
	global_load_dwordx4 v[7:10], v5, s[4:5] offset:624
	v_mad_u64_u32 v[4:5], null, s3, v6, v[4:5]
	v_mul_lo_u32 v0, v16, v1
	ds_read_b64 v[5:6], v2 offset:3888
	s_lshl_b64 s[2:3], s[6:7], 3
	s_add_i32 s4, 0, 0x16c8
	v_mad_u64_u32 v[15:16], null, s0, v19, 0
	v_lshlrev_b64 v[2:3], 3, v[3:4]
	v_add_nc_u32_e32 v4, 0x51, v19
	v_add_nc_u32_e32 v22, 0xa2, v19
	s_add_u32 s2, s8, s2
	s_addc_u32 s3, s9, s3
	v_lshrrev_b32_e32 v20, 7, v17
	v_add_co_u32 v37, vcc_lo, s2, v2
	v_and_b32_e32 v21, 31, v17
	v_lshrrev_b32_e32 v23, 2, v17
	v_lshrrev_b32_e32 v24, 7, v0
	v_add_co_ci_u32_e32 v38, vcc_lo, s3, v3, vcc_lo
	v_mad_u64_u32 v[2:3], null, s0, v4, 0
	v_mad_u64_u32 v[17:18], null, s0, v22, 0
	v_and_b32_e32 v25, 31, v0
	v_lshrrev_b32_e32 v26, 2, v0
	v_mad_u64_u32 v[0:1], null, 0xffffffaf, v1, v[0:1]
	v_and_b32_e32 v20, 0xf8, v20
	v_mov_b32_e32 v1, v16
	v_lshl_add_u32 v35, v21, 3, 0
	v_and_b32_e32 v21, 0xf8, v23
	v_and_b32_e32 v16, 0xf8, v24
	;; [unrolled: 1-line block ×3, first 2 shown]
	v_add_nc_u32_e32 v33, s4, v20
	v_mad_u64_u32 v[19:20], null, s1, v19, v[1:2]
	v_mov_b32_e32 v1, v3
	v_mov_b32_e32 v3, v18
	v_add_nc_u32_e32 v21, s4, v21
	v_and_b32_e32 v24, 31, v0
	v_lshrrev_b32_e32 v26, 2, v0
	v_add_nc_u32_e32 v27, s4, v16
	v_lshl_add_u32 v25, v25, 3, 0
	v_add_nc_u32_e32 v28, s4, v23
	v_lshrrev_b32_e32 v18, 7, v0
	v_mad_u64_u32 v[22:23], null, s1, v22, v[3:4]
	ds_read_b64 v[20:21], v21 offset:256
	v_mad_u64_u32 v[0:1], null, s1, v4, v[1:2]
	v_lshl_add_u32 v4, v24, 3, 0
	v_and_b32_e32 v3, 0xf8, v26
	ds_read_b64 v[23:24], v27 offset:512
	ds_read_b64 v[25:26], v25 offset:5832
	;; [unrolled: 1-line block ×3, first 2 shown]
	v_and_b32_e32 v1, 0xf8, v18
	v_mov_b32_e32 v16, v19
	v_mov_b32_e32 v18, v22
	v_add_nc_u32_e32 v19, s4, v3
	v_mov_b32_e32 v3, v0
	v_add_nc_u32_e32 v1, s4, v1
	ds_read_b64 v[0:1], v1 offset:512
	ds_read_b64 v[29:30], v4 offset:5832
	;; [unrolled: 1-line block ×5, first 2 shown]
	v_lshlrev_b64 v[15:16], 3, v[15:16]
	v_lshlrev_b64 v[2:3], 3, v[2:3]
	;; [unrolled: 1-line block ×3, first 2 shown]
	v_add_co_u32 v15, vcc_lo, v37, v15
	s_waitcnt lgkmcnt(5)
	v_mul_f32_e32 v4, v26, v28
	v_mul_f32_e32 v19, v25, v28
	v_add_co_ci_u32_e32 v16, vcc_lo, v38, v16, vcc_lo
	v_add_co_u32 v2, vcc_lo, v37, v2
	v_fma_f32 v4, v25, v27, -v4
	v_fmac_f32_e32 v19, v26, v27
	v_add_co_ci_u32_e32 v3, vcc_lo, v38, v3, vcc_lo
	s_waitcnt lgkmcnt(2)
	v_mul_f32_e32 v22, v30, v32
	v_mul_f32_e32 v25, v29, v32
	;; [unrolled: 1-line block ×4, first 2 shown]
	s_waitcnt lgkmcnt(0)
	v_mul_f32_e32 v26, v36, v21
	v_mul_f32_e32 v21, v35, v21
	v_fma_f32 v22, v29, v31, -v22
	v_fma_f32 v4, v23, v4, -v27
	v_fmac_f32_e32 v24, v23, v19
	v_fmac_f32_e32 v25, v30, v31
	;; [unrolled: 1-line block ×3, first 2 shown]
	v_fma_f32 v26, v35, v20, -v26
	v_mul_f32_e32 v20, v22, v1
	v_add_co_u32 v17, vcc_lo, v37, v17
	v_mul_f32_e32 v19, v25, v1
	v_mul_f32_e32 v1, v21, v34
	;; [unrolled: 1-line block ×3, first 2 shown]
	v_fmac_f32_e32 v20, v0, v25
	v_add_co_ci_u32_e32 v18, vcc_lo, v38, v18, vcc_lo
	v_fmac_f32_e32 v28, v33, v21
	s_waitcnt vmcnt(0)
	v_mul_f32_e32 v23, v8, v14
	v_mul_f32_e32 v27, v10, v6
	;; [unrolled: 1-line block ×4, first 2 shown]
	v_fma_f32 v7, v7, v13, -v23
	v_fma_f32 v5, v9, v5, -v27
	v_fmac_f32_e32 v14, v8, v13
	v_fmac_f32_e32 v10, v9, v6
	v_fma_f32 v6, v0, v22, -v19
	v_fma_f32 v0, v33, v26, -v1
	v_add_f32_e32 v9, v7, v5
	v_sub_f32_e32 v1, v7, v5
	v_add_f32_e32 v8, v14, v10
	v_sub_f32_e32 v13, v14, v10
	v_add_f32_e32 v14, v14, v12
	v_add_f32_e32 v7, v7, v11
	v_fma_f32 v9, -0.5, v9, v11
	v_fma_f32 v8, -0.5, v8, v12
	v_add_f32_e32 v10, v14, v10
	v_add_f32_e32 v11, v7, v5
	v_fmamk_f32 v14, v13, 0xbf5db3d7, v9
	v_fmamk_f32 v12, v1, 0x3f5db3d7, v8
	v_fmac_f32_e32 v8, 0xbf5db3d7, v1
	v_fmac_f32_e32 v9, 0x3f5db3d7, v13
	v_mul_f32_e32 v1, v11, v28
	v_mul_f32_e32 v13, v10, v28
	;; [unrolled: 1-line block ×6, first 2 shown]
	v_fmac_f32_e32 v1, v10, v0
	v_fma_f32 v0, v11, v0, -v13
	v_fmac_f32_e32 v5, v12, v4
	v_fmac_f32_e32 v7, v8, v6
	v_fma_f32 v6, v9, v6, -v20
	v_fma_f32 v4, v14, v4, -v19
	global_store_dwordx2 v[15:16], v[0:1], off
	global_store_dwordx2 v[2:3], v[6:7], off
	;; [unrolled: 1-line block ×3, first 2 shown]
.LBB0_16:
	s_endpgm
	.section	.rodata,"a",@progbits
	.p2align	6, 0x0
	.amdhsa_kernel fft_rtc_fwd_len243_factors_3_3_3_3_3_wgs_243_tpt_81_sp_ip_CI_sbcc_twdbase5_3step_dirReg_intrinsicRead
		.amdhsa_group_segment_fixed_size 0
		.amdhsa_private_segment_fixed_size 0
		.amdhsa_kernarg_size 96
		.amdhsa_user_sgpr_count 6
		.amdhsa_user_sgpr_private_segment_buffer 1
		.amdhsa_user_sgpr_dispatch_ptr 0
		.amdhsa_user_sgpr_queue_ptr 0
		.amdhsa_user_sgpr_kernarg_segment_ptr 1
		.amdhsa_user_sgpr_dispatch_id 0
		.amdhsa_user_sgpr_flat_scratch_init 0
		.amdhsa_user_sgpr_private_segment_size 0
		.amdhsa_wavefront_size32 1
		.amdhsa_uses_dynamic_stack 0
		.amdhsa_system_sgpr_private_segment_wavefront_offset 0
		.amdhsa_system_sgpr_workgroup_id_x 1
		.amdhsa_system_sgpr_workgroup_id_y 0
		.amdhsa_system_sgpr_workgroup_id_z 0
		.amdhsa_system_sgpr_workgroup_info 0
		.amdhsa_system_vgpr_workitem_id 0
		.amdhsa_next_free_vgpr 39
		.amdhsa_next_free_sgpr 44
		.amdhsa_reserve_vcc 1
		.amdhsa_reserve_flat_scratch 0
		.amdhsa_float_round_mode_32 0
		.amdhsa_float_round_mode_16_64 0
		.amdhsa_float_denorm_mode_32 3
		.amdhsa_float_denorm_mode_16_64 3
		.amdhsa_dx10_clamp 1
		.amdhsa_ieee_mode 1
		.amdhsa_fp16_overflow 0
		.amdhsa_workgroup_processor_mode 1
		.amdhsa_memory_ordered 1
		.amdhsa_forward_progress 0
		.amdhsa_shared_vgpr_count 0
		.amdhsa_exception_fp_ieee_invalid_op 0
		.amdhsa_exception_fp_denorm_src 0
		.amdhsa_exception_fp_ieee_div_zero 0
		.amdhsa_exception_fp_ieee_overflow 0
		.amdhsa_exception_fp_ieee_underflow 0
		.amdhsa_exception_fp_ieee_inexact 0
		.amdhsa_exception_int_div_zero 0
	.end_amdhsa_kernel
	.text
.Lfunc_end0:
	.size	fft_rtc_fwd_len243_factors_3_3_3_3_3_wgs_243_tpt_81_sp_ip_CI_sbcc_twdbase5_3step_dirReg_intrinsicRead, .Lfunc_end0-fft_rtc_fwd_len243_factors_3_3_3_3_3_wgs_243_tpt_81_sp_ip_CI_sbcc_twdbase5_3step_dirReg_intrinsicRead
                                        ; -- End function
	.section	.AMDGPU.csdata,"",@progbits
; Kernel info:
; codeLenInByte = 3516
; NumSgprs: 46
; NumVgprs: 39
; ScratchSize: 0
; MemoryBound: 0
; FloatMode: 240
; IeeeMode: 1
; LDSByteSize: 0 bytes/workgroup (compile time only)
; SGPRBlocks: 5
; VGPRBlocks: 4
; NumSGPRsForWavesPerEU: 46
; NumVGPRsForWavesPerEU: 39
; Occupancy: 16
; WaveLimiterHint : 1
; COMPUTE_PGM_RSRC2:SCRATCH_EN: 0
; COMPUTE_PGM_RSRC2:USER_SGPR: 6
; COMPUTE_PGM_RSRC2:TRAP_HANDLER: 0
; COMPUTE_PGM_RSRC2:TGID_X_EN: 1
; COMPUTE_PGM_RSRC2:TGID_Y_EN: 0
; COMPUTE_PGM_RSRC2:TGID_Z_EN: 0
; COMPUTE_PGM_RSRC2:TIDIG_COMP_CNT: 0
	.text
	.p2alignl 6, 3214868480
	.fill 48, 4, 3214868480
	.type	__hip_cuid_890384955561a85d,@object ; @__hip_cuid_890384955561a85d
	.section	.bss,"aw",@nobits
	.globl	__hip_cuid_890384955561a85d
__hip_cuid_890384955561a85d:
	.byte	0                               ; 0x0
	.size	__hip_cuid_890384955561a85d, 1

	.ident	"AMD clang version 19.0.0git (https://github.com/RadeonOpenCompute/llvm-project roc-6.4.0 25133 c7fe45cf4b819c5991fe208aaa96edf142730f1d)"
	.section	".note.GNU-stack","",@progbits
	.addrsig
	.addrsig_sym __hip_cuid_890384955561a85d
	.amdgpu_metadata
---
amdhsa.kernels:
  - .args:
      - .actual_access:  read_only
        .address_space:  global
        .offset:         0
        .size:           8
        .value_kind:     global_buffer
      - .address_space:  global
        .offset:         8
        .size:           8
        .value_kind:     global_buffer
      - .offset:         16
        .size:           8
        .value_kind:     by_value
      - .actual_access:  read_only
        .address_space:  global
        .offset:         24
        .size:           8
        .value_kind:     global_buffer
      - .actual_access:  read_only
        .address_space:  global
        .offset:         32
        .size:           8
        .value_kind:     global_buffer
      - .offset:         40
        .size:           8
        .value_kind:     by_value
      - .actual_access:  read_only
        .address_space:  global
        .offset:         48
        .size:           8
        .value_kind:     global_buffer
      - .actual_access:  read_only
        .address_space:  global
        .offset:         56
        .size:           8
        .value_kind:     global_buffer
      - .offset:         64
        .size:           4
        .value_kind:     by_value
      - .actual_access:  read_only
        .address_space:  global
        .offset:         72
        .size:           8
        .value_kind:     global_buffer
      - .actual_access:  read_only
        .address_space:  global
        .offset:         80
        .size:           8
        .value_kind:     global_buffer
      - .address_space:  global
        .offset:         88
        .size:           8
        .value_kind:     global_buffer
    .group_segment_fixed_size: 0
    .kernarg_segment_align: 8
    .kernarg_segment_size: 96
    .language:       OpenCL C
    .language_version:
      - 2
      - 0
    .max_flat_workgroup_size: 243
    .name:           fft_rtc_fwd_len243_factors_3_3_3_3_3_wgs_243_tpt_81_sp_ip_CI_sbcc_twdbase5_3step_dirReg_intrinsicRead
    .private_segment_fixed_size: 0
    .sgpr_count:     46
    .sgpr_spill_count: 0
    .symbol:         fft_rtc_fwd_len243_factors_3_3_3_3_3_wgs_243_tpt_81_sp_ip_CI_sbcc_twdbase5_3step_dirReg_intrinsicRead.kd
    .uniform_work_group_size: 1
    .uses_dynamic_stack: false
    .vgpr_count:     39
    .vgpr_spill_count: 0
    .wavefront_size: 32
    .workgroup_processor_mode: 1
amdhsa.target:   amdgcn-amd-amdhsa--gfx1030
amdhsa.version:
  - 1
  - 2
...

	.end_amdgpu_metadata
